;; amdgpu-corpus repo=zjin-lcf/HeCBench kind=compiled arch=gfx950 opt=O3
	.amdgcn_target "amdgcn-amd-amdhsa--gfx950"
	.amdhsa_code_object_version 6
	.text
	.protected	_Z24groupnorm_forward_kernelPKfS0_S0_PfS1_S1_iiiii ; -- Begin function _Z24groupnorm_forward_kernelPKfS0_S0_PfS1_S1_iiiii
	.globl	_Z24groupnorm_forward_kernelPKfS0_S0_PfS1_S1_iiiii
	.p2align	8
	.type	_Z24groupnorm_forward_kernelPKfS0_S0_PfS1_S1_iiiii,@function
_Z24groupnorm_forward_kernelPKfS0_S0_PfS1_S1_iiiii: ; @_Z24groupnorm_forward_kernelPKfS0_S0_PfS1_S1_iiiii
; %bb.0:
	s_load_dwordx4 s[16:19], s[0:1], 0x38
	s_load_dwordx4 s[20:23], s[0:1], 0x20
	s_load_dword s4, s[0:1], 0x54
	s_mov_b32 s3, 0
	s_load_dwordx8 s[8:15], s[0:1], 0x0
	s_waitcnt lgkmcnt(0)
	v_cvt_f32_u32_e32 v1, s18
	s_mul_i32 s26, s17, s16
	s_mov_b32 s1, s3
	s_mul_i32 s0, s26, s2
	v_rcp_iflag_f32_e32 v1, v1
	s_and_b32 s19, s4, 0xffff
	s_sub_i32 s4, 0, s18
	s_lshl_b64 s[24:25], s[0:1], 2
	v_mul_f32_e32 v1, 0x4f7ffffe, v1
	v_cvt_u32_f32_e32 v1, v1
	v_mov_b32_e32 v3, 0
	v_mov_b32_e32 v2, v3
	v_readfirstlane_b32 s0, v1
	s_mul_i32 s4, s4, s0
	s_mul_hi_u32 s1, s0, s4
	s_add_i32 s0, s0, s1
	s_add_u32 s8, s8, s24
	s_mul_hi_u32 s27, s2, s0
	s_addc_u32 s9, s9, s25
	v_cmp_gt_i32_e64 s[0:1], s26, v0
	s_and_saveexec_b64 s[4:5], s[0:1]
	s_cbranch_execz .LBB0_4
; %bb.1:
	v_mov_b32_e32 v2, 0
	s_mov_b64 s[6:7], 0
	v_mov_b32_e32 v4, v0
	v_mov_b32_e32 v3, v2
.LBB0_2:                                ; =>This Inner Loop Header: Depth=1
	v_ashrrev_i32_e32 v5, 31, v4
	v_lshl_add_u64 v[6:7], v[4:5], 2, s[8:9]
	global_load_dword v7, v[6:7], off
	v_add_u32_e32 v4, s19, v4
	v_cmp_le_i32_e32 vcc, s26, v4
	s_or_b64 s[6:7], vcc, s[6:7]
	s_waitcnt vmcnt(0)
	v_mul_f32_e32 v6, v7, v7
	v_pk_add_f32 v[2:3], v[2:3], v[6:7]
	s_andn2_b64 exec, exec, s[6:7]
	s_cbranch_execnz .LBB0_2
; %bb.3:
	s_or_b64 exec, exec, s[6:7]
.LBB0_4:
	s_or_b64 exec, exec, s[4:5]
	v_mbcnt_lo_u32_b32 v1, -1, 0
	v_mbcnt_hi_u32_b32 v8, -1, v1
	v_and_b32_e32 v1, 64, v8
	v_add_u32_e32 v9, 64, v1
	v_xor_b32_e32 v1, 32, v8
	v_cmp_lt_i32_e32 vcc, v1, v9
	v_xor_b32_e32 v5, 16, v8
	v_xor_b32_e32 v6, 8, v8
	v_cndmask_b32_e32 v1, v8, v1, vcc
	v_lshlrev_b32_e32 v4, 2, v1
	ds_bpermute_b32 v1, v4, v3
	v_cmp_lt_i32_e32 vcc, v5, v9
	ds_bpermute_b32 v10, v4, v2
	v_xor_b32_e32 v7, 4, v8
	s_lshr_b32 s4, s19, 6
	s_waitcnt lgkmcnt(1)
	v_add_f32_e32 v3, v3, v1
	v_cndmask_b32_e32 v1, v8, v5, vcc
	v_lshlrev_b32_e32 v1, 2, v1
	ds_bpermute_b32 v5, v1, v3
	v_cmp_lt_i32_e32 vcc, v6, v9
	s_waitcnt lgkmcnt(1)
	v_add_f32_e32 v2, v2, v10
	ds_bpermute_b32 v10, v1, v2
	s_waitcnt lgkmcnt(1)
	v_add_f32_e32 v3, v3, v5
	v_cndmask_b32_e32 v5, v8, v6, vcc
	v_lshlrev_b32_e32 v5, 2, v5
	ds_bpermute_b32 v6, v5, v3
	v_cmp_lt_i32_e32 vcc, v7, v9
	s_waitcnt lgkmcnt(1)
	v_add_f32_e32 v2, v2, v10
	ds_bpermute_b32 v10, v5, v2
	s_waitcnt lgkmcnt(1)
	v_add_f32_e32 v3, v3, v6
	v_cndmask_b32_e32 v6, v8, v7, vcc
	v_lshlrev_b32_e32 v6, 2, v6
	ds_bpermute_b32 v7, v6, v3
	s_waitcnt lgkmcnt(1)
	v_add_f32_e32 v2, v2, v10
	ds_bpermute_b32 v10, v6, v2
	s_waitcnt lgkmcnt(1)
	v_add_f32_e32 v3, v3, v7
	v_xor_b32_e32 v7, 2, v8
	v_cmp_lt_i32_e32 vcc, v7, v9
	s_waitcnt lgkmcnt(0)
	v_add_f32_e32 v2, v2, v10
	v_cndmask_b32_e32 v7, v8, v7, vcc
	v_lshlrev_b32_e32 v7, 2, v7
	ds_bpermute_b32 v11, v7, v3
	ds_bpermute_b32 v10, v7, v2
	s_waitcnt lgkmcnt(1)
	v_add_f32_e32 v3, v3, v11
	v_xor_b32_e32 v11, 1, v8
	v_cmp_lt_i32_e32 vcc, v11, v9
	s_waitcnt lgkmcnt(0)
	v_add_f32_e32 v2, v2, v10
	v_cndmask_b32_e32 v8, v8, v11, vcc
	v_lshlrev_b32_e32 v8, 2, v8
	ds_bpermute_b32 v9, v8, v3
	ds_bpermute_b32 v10, v8, v2
	v_and_b32_e32 v11, 63, v0
	v_cmp_gt_u32_e32 vcc, s4, v11
	s_waitcnt lgkmcnt(1)
	v_add_f32_e32 v3, v3, v9
	v_lshrrev_b32_e32 v9, 4, v0
	s_waitcnt lgkmcnt(0)
	v_add_f32_e32 v2, v2, v10
	v_and_b32_e32 v9, 60, v9
	ds_write2_b32 v9, v3, v2 offset1:16
	v_mov_b32_e32 v2, 0
	v_lshlrev_b32_e32 v9, 2, v11
	v_mov_b32_e32 v3, 0
	s_waitcnt lgkmcnt(0)
	s_barrier
	s_and_saveexec_b64 s[4:5], vcc
; %bb.5:
	ds_read_b32 v3, v9
; %bb.6:
	s_or_b64 exec, exec, s[4:5]
	s_and_saveexec_b64 s[4:5], vcc
; %bb.7:
	ds_read_b32 v2, v9 offset:64
; %bb.8:
	s_or_b64 exec, exec, s[4:5]
	s_waitcnt lgkmcnt(0)
	ds_bpermute_b32 v11, v4, v3
	ds_bpermute_b32 v10, v4, v2
	s_cmp_lg_u64 s[20:21], 0
	v_cmp_eq_u32_e64 s[4:5], 0, v0
	s_cselect_b64 s[28:29], -1, 0
	s_and_b64 s[28:29], s[4:5], s[28:29]
	s_waitcnt lgkmcnt(0)
	v_pk_add_f32 v[2:3], v[2:3], v[10:11]
	ds_bpermute_b32 v11, v1, v3
	ds_bpermute_b32 v10, v1, v2
	v_cvt_f32_i32_e32 v1, s26
	s_waitcnt lgkmcnt(0)
	v_pk_add_f32 v[2:3], v[2:3], v[10:11]
	ds_bpermute_b32 v11, v5, v3
	ds_bpermute_b32 v10, v5, v2
	s_waitcnt lgkmcnt(0)
	v_pk_add_f32 v[2:3], v[2:3], v[10:11]
	ds_bpermute_b32 v5, v6, v3
	ds_bpermute_b32 v4, v6, v2
	;; [unrolled: 4-line block ×4, first 2 shown]
	s_waitcnt lgkmcnt(0)
	v_pk_add_f32 v[4:5], v[2:3], v[4:5]
	s_nop 0
	v_div_scale_f32 v2, s[6:7], v1, v1, v5
	v_div_scale_f32 v6, s[6:7], v1, v1, v4
	v_rcp_f32_e32 v7, v2
	v_rcp_f32_e32 v8, v6
	v_div_scale_f32 v3, vcc, v5, v1, v5
	v_fma_f32 v10, -v2, v7, 1.0
	v_fma_f32 v11, -v6, v8, 1.0
	v_fmac_f32_e32 v7, v10, v7
	v_div_scale_f32 v9, s[6:7], v4, v1, v4
	v_fmac_f32_e32 v8, v11, v8
	v_mul_f32_e32 v10, v3, v7
	v_mul_f32_e32 v11, v9, v8
	v_fma_f32 v12, -v2, v10, v3
	v_fma_f32 v13, -v6, v11, v9
	v_fmac_f32_e32 v10, v12, v7
	v_fmac_f32_e32 v11, v13, v8
	v_fma_f32 v2, -v2, v10, v3
	v_fma_f32 v3, -v6, v11, v9
	v_div_fmas_f32 v2, v2, v7, v10
	s_mov_b64 vcc, s[6:7]
	v_div_fmas_f32 v3, v3, v8, v11
	v_div_fixup_f32 v2, v2, v1, v5
	v_div_fixup_f32 v1, v3, v1, v4
	s_and_saveexec_b64 s[6:7], s[28:29]
	s_cbranch_execz .LBB0_10
; %bb.9:
	s_lshl_b64 s[28:29], s[2:3], 2
	s_add_u32 s20, s20, s28
	s_addc_u32 s21, s21, s29
	v_mov_b32_e32 v3, 0
	global_store_dword v3, v2, s[20:21]
.LBB0_10:
	s_or_b64 exec, exec, s[6:7]
	v_fma_f32 v1, -v2, v2, v1
	v_add_f32_e32 v1, 0x3727c5ac, v1
	s_mov_b32 s6, 0x800000
	v_mul_f32_e32 v3, 0x4b800000, v1
	v_cmp_gt_f32_e32 vcc, s6, v1
	s_cmp_lg_u64 s[22:23], 0
	s_cselect_b64 s[6:7], -1, 0
	v_cndmask_b32_e32 v1, v1, v3, vcc
	v_rsq_f32_e32 v1, v1
	s_and_b64 s[6:7], s[4:5], s[6:7]
	v_mul_f32_e32 v3, 0x45800000, v1
	v_cndmask_b32_e32 v3, v1, v3, vcc
	s_and_saveexec_b64 s[4:5], s[6:7]
	s_cbranch_execz .LBB0_12
; %bb.11:
	s_lshl_b64 s[6:7], s[2:3], 2
	s_add_u32 s6, s22, s6
	s_addc_u32 s7, s23, s7
	v_mov_b32_e32 v1, 0
	global_store_dword v1, v3, s[6:7]
.LBB0_12:
	s_or_b64 exec, exec, s[4:5]
	s_and_saveexec_b64 s[4:5], s[0:1]
	s_cbranch_execz .LBB0_15
; %bb.13:
	s_mul_i32 s27, s27, s18
	s_sub_i32 s0, s2, s27
	s_sub_i32 s1, s0, s18
	s_cmp_ge_u32 s0, s18
	s_cselect_b32 s0, s1, s0
	s_sub_i32 s1, s0, s18
	s_cmp_ge_u32 s0, s18
	s_cselect_b32 s2, s1, s0
	s_add_u32 s0, s14, s24
	s_mul_i32 s2, s2, s17
	s_addc_u32 s1, s15, s25
	s_ashr_i32 s3, s2, 31
	s_lshl_b64 s[4:5], s[2:3], 2
	s_add_u32 s2, s10, s4
	s_addc_u32 s3, s11, s5
	s_add_u32 s4, s12, s4
	s_addc_u32 s5, s13, s5
	s_abs_i32 s10, s16
	v_cvt_f32_u32_e32 v1, s10
	s_sub_i32 s6, 0, s10
	s_ashr_i32 s11, s16, 31
	v_rcp_iflag_f32_e32 v1, v1
	s_nop 0
	v_mul_f32_e32 v1, 0x4f7ffffe, v1
	v_cvt_u32_f32_e32 v1, v1
	v_mul_lo_u32 v4, s6, v1
	v_mul_hi_u32 v4, v1, v4
	v_add_u32_e32 v4, v1, v4
	s_mov_b64 s[6:7], 0
.LBB0_14:                               ; =>This Inner Loop Header: Depth=1
	v_sub_u32_e32 v6, 0, v0
	v_max_i32_e32 v6, v0, v6
	v_mul_hi_u32 v7, v6, v4
	v_mul_lo_u32 v8, v7, s10
	v_sub_u32_e32 v6, v6, v8
	v_add_u32_e32 v8, 1, v7
	v_cmp_le_u32_e32 vcc, s10, v6
	v_ashrrev_i32_e32 v1, 31, v0
	v_xor_b32_e32 v5, s11, v1
	v_cndmask_b32_e32 v7, v7, v8, vcc
	v_subrev_u32_e32 v8, s10, v6
	v_cndmask_b32_e32 v6, v6, v8, vcc
	v_add_u32_e32 v8, 1, v7
	v_cmp_le_u32_e32 vcc, s10, v6
	s_nop 1
	v_cndmask_b32_e32 v6, v7, v8, vcc
	v_xor_b32_e32 v6, v6, v5
	v_sub_u32_e32 v6, v6, v5
	v_lshlrev_b64 v[8:9], 2, v[0:1]
	v_lshl_add_u64 v[10:11], s[8:9], 0, v[8:9]
	v_ashrrev_i32_e32 v7, 31, v6
	global_load_dword v1, v[10:11], off
	v_lshlrev_b64 v[6:7], 2, v[6:7]
	v_lshl_add_u64 v[10:11], s[2:3], 0, v[6:7]
	v_lshl_add_u64 v[6:7], s[4:5], 0, v[6:7]
	global_load_dword v5, v[10:11], off
	v_add_u32_e32 v0, s19, v0
	global_load_dword v10, v[6:7], off
	v_cmp_le_i32_e32 vcc, s26, v0
	v_lshl_add_u64 v[6:7], s[0:1], 0, v[8:9]
	s_or_b64 s[6:7], vcc, s[6:7]
	s_waitcnt vmcnt(2)
	v_sub_f32_e32 v1, v1, v2
	v_mul_f32_e32 v1, v3, v1
	s_waitcnt vmcnt(0)
	v_fmac_f32_e32 v10, v5, v1
	global_store_dword v[6:7], v10, off
	s_andn2_b64 exec, exec, s[6:7]
	s_cbranch_execnz .LBB0_14
.LBB0_15:
	s_endpgm
	.section	.rodata,"a",@progbits
	.p2align	6, 0x0
	.amdhsa_kernel _Z24groupnorm_forward_kernelPKfS0_S0_PfS1_S1_iiiii
		.amdhsa_group_segment_fixed_size 128
		.amdhsa_private_segment_fixed_size 0
		.amdhsa_kernarg_size 328
		.amdhsa_user_sgpr_count 2
		.amdhsa_user_sgpr_dispatch_ptr 0
		.amdhsa_user_sgpr_queue_ptr 0
		.amdhsa_user_sgpr_kernarg_segment_ptr 1
		.amdhsa_user_sgpr_dispatch_id 0
		.amdhsa_user_sgpr_kernarg_preload_length 0
		.amdhsa_user_sgpr_kernarg_preload_offset 0
		.amdhsa_user_sgpr_private_segment_size 0
		.amdhsa_uses_dynamic_stack 0
		.amdhsa_enable_private_segment 0
		.amdhsa_system_sgpr_workgroup_id_x 1
		.amdhsa_system_sgpr_workgroup_id_y 0
		.amdhsa_system_sgpr_workgroup_id_z 0
		.amdhsa_system_sgpr_workgroup_info 0
		.amdhsa_system_vgpr_workitem_id 0
		.amdhsa_next_free_vgpr 14
		.amdhsa_next_free_sgpr 30
		.amdhsa_accum_offset 16
		.amdhsa_reserve_vcc 1
		.amdhsa_float_round_mode_32 0
		.amdhsa_float_round_mode_16_64 0
		.amdhsa_float_denorm_mode_32 3
		.amdhsa_float_denorm_mode_16_64 3
		.amdhsa_dx10_clamp 1
		.amdhsa_ieee_mode 1
		.amdhsa_fp16_overflow 0
		.amdhsa_tg_split 0
		.amdhsa_exception_fp_ieee_invalid_op 0
		.amdhsa_exception_fp_denorm_src 0
		.amdhsa_exception_fp_ieee_div_zero 0
		.amdhsa_exception_fp_ieee_overflow 0
		.amdhsa_exception_fp_ieee_underflow 0
		.amdhsa_exception_fp_ieee_inexact 0
		.amdhsa_exception_int_div_zero 0
	.end_amdhsa_kernel
	.text
.Lfunc_end0:
	.size	_Z24groupnorm_forward_kernelPKfS0_S0_PfS1_S1_iiiii, .Lfunc_end0-_Z24groupnorm_forward_kernelPKfS0_S0_PfS1_S1_iiiii
                                        ; -- End function
	.set _Z24groupnorm_forward_kernelPKfS0_S0_PfS1_S1_iiiii.num_vgpr, 14
	.set _Z24groupnorm_forward_kernelPKfS0_S0_PfS1_S1_iiiii.num_agpr, 0
	.set _Z24groupnorm_forward_kernelPKfS0_S0_PfS1_S1_iiiii.numbered_sgpr, 30
	.set _Z24groupnorm_forward_kernelPKfS0_S0_PfS1_S1_iiiii.num_named_barrier, 0
	.set _Z24groupnorm_forward_kernelPKfS0_S0_PfS1_S1_iiiii.private_seg_size, 0
	.set _Z24groupnorm_forward_kernelPKfS0_S0_PfS1_S1_iiiii.uses_vcc, 1
	.set _Z24groupnorm_forward_kernelPKfS0_S0_PfS1_S1_iiiii.uses_flat_scratch, 0
	.set _Z24groupnorm_forward_kernelPKfS0_S0_PfS1_S1_iiiii.has_dyn_sized_stack, 0
	.set _Z24groupnorm_forward_kernelPKfS0_S0_PfS1_S1_iiiii.has_recursion, 0
	.set _Z24groupnorm_forward_kernelPKfS0_S0_PfS1_S1_iiiii.has_indirect_call, 0
	.section	.AMDGPU.csdata,"",@progbits
; Kernel info:
; codeLenInByte = 1444
; TotalNumSgprs: 36
; NumVgprs: 14
; NumAgprs: 0
; TotalNumVgprs: 14
; ScratchSize: 0
; MemoryBound: 0
; FloatMode: 240
; IeeeMode: 1
; LDSByteSize: 128 bytes/workgroup (compile time only)
; SGPRBlocks: 4
; VGPRBlocks: 1
; NumSGPRsForWavesPerEU: 36
; NumVGPRsForWavesPerEU: 14
; AccumOffset: 16
; Occupancy: 8
; WaveLimiterHint : 0
; COMPUTE_PGM_RSRC2:SCRATCH_EN: 0
; COMPUTE_PGM_RSRC2:USER_SGPR: 2
; COMPUTE_PGM_RSRC2:TRAP_HANDLER: 0
; COMPUTE_PGM_RSRC2:TGID_X_EN: 1
; COMPUTE_PGM_RSRC2:TGID_Y_EN: 0
; COMPUTE_PGM_RSRC2:TGID_Z_EN: 0
; COMPUTE_PGM_RSRC2:TIDIG_COMP_CNT: 0
; COMPUTE_PGM_RSRC3_GFX90A:ACCUM_OFFSET: 3
; COMPUTE_PGM_RSRC3_GFX90A:TG_SPLIT: 0
	.text
	.protected	_Z25groupnorm_forward_kernel2PKfS0_S0_PfS1_S1_iiiii ; -- Begin function _Z25groupnorm_forward_kernel2PKfS0_S0_PfS1_S1_iiiii
	.globl	_Z25groupnorm_forward_kernel2PKfS0_S0_PfS1_S1_iiiii
	.p2align	8
	.type	_Z25groupnorm_forward_kernel2PKfS0_S0_PfS1_S1_iiiii,@function
_Z25groupnorm_forward_kernel2PKfS0_S0_PfS1_S1_iiiii: ; @_Z25groupnorm_forward_kernel2PKfS0_S0_PfS1_S1_iiiii
; %bb.0:
	s_load_dwordx4 s[12:15], s[0:1], 0x38
	s_load_dwordx4 s[16:19], s[0:1], 0x20
	s_waitcnt lgkmcnt(0)
	s_load_dword s15, s[0:1], 0x54
	s_load_dwordx8 s[4:11], s[0:1], 0x0
	s_mov_b32 s3, 0
	v_cvt_f32_u32_e32 v1, s14
	s_mul_i32 s26, s13, s12
	s_sub_i32 s20, 0, s14
	s_ashr_i32 s21, s26, 31
	v_rcp_iflag_f32_e32 v1, v1
	s_lshr_b32 s21, s21, 30
	v_mov_b32_e32 v2, 0
	s_mov_b32 s1, s3
	v_mul_f32_e32 v1, 0x4f7ffffe, v1
	v_cvt_u32_f32_e32 v1, v1
	s_waitcnt lgkmcnt(0)
	s_and_b32 s15, s15, 0xffff
	s_mul_i32 s0, s26, s2
	v_mov_b32_e32 v3, v2
	v_readfirstlane_b32 s22, v1
	s_mul_i32 s20, s20, s22
	s_mul_hi_u32 s20, s22, s20
	s_add_i32 s22, s22, s20
	s_add_i32 s20, s26, s21
	s_ashr_i32 s28, s20, 2
	s_mul_hi_u32 s27, s2, s22
	v_cmp_gt_i32_e32 vcc, s28, v0
	s_and_saveexec_b64 s[20:21], vcc
	s_cbranch_execz .LBB1_4
; %bb.1:
	s_lshl_b64 s[22:23], s[0:1], 2
	s_add_u32 s22, s4, s22
	v_lshlrev_b32_e32 v4, 4, v0
	v_mov_b32_e32 v5, v2
	s_addc_u32 s23, s5, s23
	v_lshl_add_u64 v[4:5], s[22:23], 0, v[4:5]
	v_lshl_add_u64 v[4:5], v[4:5], 0, 8
	s_lshl_b32 s22, s15, 4
	s_mov_b32 s23, s3
	s_mov_b64 s[24:25], 0
	v_mov_b32_e32 v1, v0
	v_mov_b32_e32 v3, v2
	v_mov_b32_e32 v6, v2
	v_mov_b32_e32 v7, v2
	v_mov_b32_e32 v8, v2
	v_mov_b32_e32 v9, v2
	v_mov_b32_e32 v10, v2
	v_mov_b32_e32 v11, v2
.LBB1_2:                                ; =>This Inner Loop Header: Depth=1
	global_load_dwordx4 v[12:15], v[4:5], off offset:-8
	v_add_u32_e32 v1, s15, v1
	v_cmp_le_i32_e32 vcc, s28, v1
	v_lshl_add_u64 v[4:5], v[4:5], 0, s[22:23]
	s_or_b64 s[24:25], vcc, s[24:25]
	s_waitcnt vmcnt(0)
	v_pk_mul_f32 v[16:17], v[12:13], v[12:13]
	v_pk_mul_f32 v[20:21], v[14:15], v[14:15]
	v_mov_b32_e32 v18, v12
	v_mov_b32_e32 v12, v14
	;; [unrolled: 1-line block ×6, first 2 shown]
	v_pk_add_f32 v[2:3], v[2:3], v[18:19]
	v_pk_add_f32 v[6:7], v[6:7], v[16:17]
	;; [unrolled: 1-line block ×4, first 2 shown]
	s_andn2_b64 exec, exec, s[24:25]
	s_cbranch_execnz .LBB1_2
; %bb.3:
	s_or_b64 exec, exec, s[24:25]
	v_pk_add_f32 v[2:3], v[2:3], v[6:7]
	s_nop 0
	v_pk_add_f32 v[2:3], v[2:3], v[8:9]
	s_nop 0
	v_pk_add_f32 v[2:3], v[2:3], v[10:11]
.LBB1_4:
	s_or_b64 exec, exec, s[20:21]
	s_lshl_b64 s[22:23], s[0:1], 2
	s_add_u32 s20, s4, s22
	v_lshl_add_u32 v4, s28, 2, v0
	s_addc_u32 s21, s5, s23
	v_cmp_gt_i32_e32 vcc, s26, v4
	s_and_saveexec_b64 s[0:1], vcc
	s_cbranch_execz .LBB1_8
; %bb.5:
	s_mov_b64 s[4:5], 0
.LBB1_6:                                ; =>This Inner Loop Header: Depth=1
	v_ashrrev_i32_e32 v5, 31, v4
	v_lshl_add_u64 v[6:7], v[4:5], 2, s[20:21]
	global_load_dword v6, v[6:7], off
	v_add_u32_e32 v4, s15, v4
	v_cmp_le_i32_e32 vcc, s26, v4
	s_or_b64 s[4:5], vcc, s[4:5]
	s_waitcnt vmcnt(0)
	v_mul_f32_e32 v7, v6, v6
	v_pk_add_f32 v[2:3], v[2:3], v[6:7]
	s_andn2_b64 exec, exec, s[4:5]
	s_cbranch_execnz .LBB1_6
; %bb.7:
	s_or_b64 exec, exec, s[4:5]
.LBB1_8:
	s_or_b64 exec, exec, s[0:1]
	v_mbcnt_lo_u32_b32 v1, -1, 0
	v_mbcnt_hi_u32_b32 v8, -1, v1
	v_and_b32_e32 v1, 64, v8
	v_add_u32_e32 v9, 64, v1
	v_xor_b32_e32 v1, 32, v8
	v_cmp_lt_i32_e32 vcc, v1, v9
	v_xor_b32_e32 v5, 16, v8
	v_xor_b32_e32 v6, 8, v8
	v_cndmask_b32_e32 v1, v8, v1, vcc
	v_lshlrev_b32_e32 v4, 2, v1
	ds_bpermute_b32 v1, v4, v2
	v_cmp_lt_i32_e32 vcc, v5, v9
	ds_bpermute_b32 v10, v4, v3
	v_xor_b32_e32 v7, 4, v8
	s_lshr_b32 s0, s15, 6
	s_waitcnt lgkmcnt(1)
	v_add_f32_e32 v2, v2, v1
	v_cndmask_b32_e32 v1, v8, v5, vcc
	v_lshlrev_b32_e32 v1, 2, v1
	ds_bpermute_b32 v5, v1, v2
	v_cmp_lt_i32_e32 vcc, v6, v9
	s_waitcnt lgkmcnt(1)
	v_add_f32_e32 v3, v3, v10
	ds_bpermute_b32 v10, v1, v3
	s_waitcnt lgkmcnt(1)
	v_add_f32_e32 v2, v2, v5
	v_cndmask_b32_e32 v5, v8, v6, vcc
	v_lshlrev_b32_e32 v5, 2, v5
	ds_bpermute_b32 v6, v5, v2
	v_cmp_lt_i32_e32 vcc, v7, v9
	s_waitcnt lgkmcnt(1)
	v_add_f32_e32 v3, v3, v10
	ds_bpermute_b32 v10, v5, v3
	s_waitcnt lgkmcnt(1)
	v_add_f32_e32 v2, v2, v6
	v_cndmask_b32_e32 v6, v8, v7, vcc
	v_lshlrev_b32_e32 v6, 2, v6
	ds_bpermute_b32 v7, v6, v2
	s_waitcnt lgkmcnt(1)
	v_add_f32_e32 v3, v3, v10
	ds_bpermute_b32 v10, v6, v3
	s_waitcnt lgkmcnt(1)
	v_add_f32_e32 v2, v2, v7
	v_xor_b32_e32 v7, 2, v8
	v_cmp_lt_i32_e32 vcc, v7, v9
	s_waitcnt lgkmcnt(0)
	v_add_f32_e32 v3, v3, v10
	v_cndmask_b32_e32 v7, v8, v7, vcc
	v_lshlrev_b32_e32 v7, 2, v7
	ds_bpermute_b32 v11, v7, v2
	ds_bpermute_b32 v10, v7, v3
	s_waitcnt lgkmcnt(1)
	v_add_f32_e32 v2, v2, v11
	v_xor_b32_e32 v11, 1, v8
	v_cmp_lt_i32_e32 vcc, v11, v9
	s_waitcnt lgkmcnt(0)
	v_add_f32_e32 v3, v3, v10
	v_cndmask_b32_e32 v8, v8, v11, vcc
	v_lshlrev_b32_e32 v8, 2, v8
	ds_bpermute_b32 v9, v8, v2
	ds_bpermute_b32 v10, v8, v3
	v_and_b32_e32 v11, 63, v0
	v_cmp_gt_u32_e32 vcc, s0, v11
	s_waitcnt lgkmcnt(1)
	v_add_f32_e32 v2, v2, v9
	v_lshrrev_b32_e32 v9, 4, v0
	s_waitcnt lgkmcnt(0)
	v_add_f32_e32 v3, v3, v10
	v_and_b32_e32 v9, 60, v9
	ds_write2_b32 v9, v2, v3 offset1:16
	v_mov_b32_e32 v2, 0
	v_lshlrev_b32_e32 v9, 2, v11
	v_mov_b32_e32 v3, 0
	s_waitcnt lgkmcnt(0)
	s_barrier
	s_and_saveexec_b64 s[0:1], vcc
; %bb.9:
	ds_read_b32 v3, v9
; %bb.10:
	s_or_b64 exec, exec, s[0:1]
	s_and_saveexec_b64 s[0:1], vcc
; %bb.11:
	ds_read_b32 v2, v9 offset:64
; %bb.12:
	s_or_b64 exec, exec, s[0:1]
	s_waitcnt lgkmcnt(0)
	ds_bpermute_b32 v11, v4, v3
	ds_bpermute_b32 v10, v4, v2
	s_cmp_lg_u64 s[16:17], 0
	v_cmp_eq_u32_e64 s[0:1], 0, v0
	s_cselect_b64 s[24:25], -1, 0
	s_and_b64 s[24:25], s[0:1], s[24:25]
	s_waitcnt lgkmcnt(0)
	v_pk_add_f32 v[2:3], v[2:3], v[10:11]
	ds_bpermute_b32 v11, v1, v3
	ds_bpermute_b32 v10, v1, v2
	v_cvt_f32_i32_e32 v1, s26
	s_waitcnt lgkmcnt(0)
	v_pk_add_f32 v[2:3], v[2:3], v[10:11]
	ds_bpermute_b32 v11, v5, v3
	ds_bpermute_b32 v10, v5, v2
	s_waitcnt lgkmcnt(0)
	v_pk_add_f32 v[2:3], v[2:3], v[10:11]
	ds_bpermute_b32 v5, v6, v3
	ds_bpermute_b32 v4, v6, v2
	;; [unrolled: 4-line block ×4, first 2 shown]
	s_waitcnt lgkmcnt(0)
	v_pk_add_f32 v[4:5], v[2:3], v[4:5]
	s_nop 0
	v_div_scale_f32 v2, s[4:5], v1, v1, v5
	v_div_scale_f32 v6, s[4:5], v1, v1, v4
	v_rcp_f32_e32 v7, v2
	v_rcp_f32_e32 v8, v6
	v_div_scale_f32 v3, vcc, v5, v1, v5
	v_fma_f32 v10, -v2, v7, 1.0
	v_fma_f32 v11, -v6, v8, 1.0
	v_fmac_f32_e32 v7, v10, v7
	v_div_scale_f32 v9, s[4:5], v4, v1, v4
	v_fmac_f32_e32 v8, v11, v8
	v_mul_f32_e32 v10, v3, v7
	v_mul_f32_e32 v11, v9, v8
	v_fma_f32 v12, -v2, v10, v3
	v_fma_f32 v13, -v6, v11, v9
	v_fmac_f32_e32 v10, v12, v7
	v_fmac_f32_e32 v11, v13, v8
	v_fma_f32 v2, -v2, v10, v3
	v_fma_f32 v3, -v6, v11, v9
	v_div_fmas_f32 v2, v2, v7, v10
	s_mov_b64 vcc, s[4:5]
	v_div_fmas_f32 v3, v3, v8, v11
	v_div_fixup_f32 v2, v2, v1, v5
	v_div_fixup_f32 v1, v3, v1, v4
	s_and_saveexec_b64 s[4:5], s[24:25]
	s_cbranch_execz .LBB1_14
; %bb.13:
	s_lshl_b64 s[24:25], s[2:3], 2
	s_add_u32 s16, s16, s24
	s_addc_u32 s17, s17, s25
	v_mov_b32_e32 v3, 0
	global_store_dword v3, v2, s[16:17]
.LBB1_14:
	s_or_b64 exec, exec, s[4:5]
	v_fma_f32 v1, -v2, v2, v1
	v_add_f32_e32 v1, 0x3727c5ac, v1
	s_mov_b32 s4, 0x800000
	v_mul_f32_e32 v3, 0x4b800000, v1
	v_cmp_gt_f32_e32 vcc, s4, v1
	s_cmp_lg_u64 s[18:19], 0
	s_cselect_b64 s[4:5], -1, 0
	v_cndmask_b32_e32 v1, v1, v3, vcc
	v_rsq_f32_e32 v1, v1
	s_and_b64 s[4:5], s[0:1], s[4:5]
	v_mul_f32_e32 v3, 0x45800000, v1
	v_cndmask_b32_e32 v3, v1, v3, vcc
	s_and_saveexec_b64 s[0:1], s[4:5]
	s_cbranch_execz .LBB1_16
; %bb.15:
	s_lshl_b64 s[4:5], s[2:3], 2
	s_add_u32 s4, s18, s4
	s_addc_u32 s5, s19, s5
	v_mov_b32_e32 v1, 0
	global_store_dword v1, v3, s[4:5]
.LBB1_16:
	s_or_b64 exec, exec, s[0:1]
	v_cmp_gt_i32_e32 vcc, s26, v0
	s_and_saveexec_b64 s[0:1], vcc
	s_cbranch_execz .LBB1_19
; %bb.17:
	s_mul_i32 s27, s27, s14
	s_sub_i32 s0, s2, s27
	s_sub_i32 s1, s0, s14
	s_cmp_ge_u32 s0, s14
	s_cselect_b32 s0, s1, s0
	s_sub_i32 s1, s0, s14
	s_cmp_ge_u32 s0, s14
	s_cselect_b32 s2, s1, s0
	s_add_u32 s0, s10, s22
	s_mul_i32 s2, s2, s13
	s_addc_u32 s1, s11, s23
	s_ashr_i32 s3, s2, 31
	s_lshl_b64 s[4:5], s[2:3], 2
	s_add_u32 s2, s6, s4
	s_addc_u32 s3, s7, s5
	s_add_u32 s4, s8, s4
	s_addc_u32 s5, s9, s5
	s_abs_i32 s8, s12
	v_cvt_f32_u32_e32 v1, s8
	s_sub_i32 s6, 0, s8
	s_ashr_i32 s9, s12, 31
	v_rcp_iflag_f32_e32 v1, v1
	s_nop 0
	v_mul_f32_e32 v1, 0x4f7ffffe, v1
	v_cvt_u32_f32_e32 v1, v1
	v_mul_lo_u32 v4, s6, v1
	v_mul_hi_u32 v4, v1, v4
	v_add_u32_e32 v4, v1, v4
	s_mov_b64 s[6:7], 0
.LBB1_18:                               ; =>This Inner Loop Header: Depth=1
	v_sub_u32_e32 v6, 0, v0
	v_max_i32_e32 v6, v0, v6
	v_mul_hi_u32 v7, v6, v4
	v_mul_lo_u32 v8, v7, s8
	v_sub_u32_e32 v6, v6, v8
	v_add_u32_e32 v8, 1, v7
	v_cmp_le_u32_e32 vcc, s8, v6
	v_ashrrev_i32_e32 v1, 31, v0
	v_xor_b32_e32 v5, s9, v1
	v_cndmask_b32_e32 v7, v7, v8, vcc
	v_subrev_u32_e32 v8, s8, v6
	v_cndmask_b32_e32 v6, v6, v8, vcc
	v_add_u32_e32 v8, 1, v7
	v_cmp_le_u32_e32 vcc, s8, v6
	s_nop 1
	v_cndmask_b32_e32 v6, v7, v8, vcc
	v_xor_b32_e32 v6, v6, v5
	v_sub_u32_e32 v6, v6, v5
	v_lshlrev_b64 v[8:9], 2, v[0:1]
	v_lshl_add_u64 v[10:11], s[20:21], 0, v[8:9]
	v_ashrrev_i32_e32 v7, 31, v6
	global_load_dword v1, v[10:11], off
	v_lshlrev_b64 v[6:7], 2, v[6:7]
	v_lshl_add_u64 v[10:11], s[2:3], 0, v[6:7]
	v_lshl_add_u64 v[6:7], s[4:5], 0, v[6:7]
	global_load_dword v5, v[10:11], off
	v_add_u32_e32 v0, s15, v0
	global_load_dword v10, v[6:7], off
	v_cmp_le_i32_e32 vcc, s26, v0
	v_lshl_add_u64 v[6:7], s[0:1], 0, v[8:9]
	s_or_b64 s[6:7], vcc, s[6:7]
	s_waitcnt vmcnt(2)
	v_sub_f32_e32 v1, v1, v2
	v_mul_f32_e32 v1, v3, v1
	s_waitcnt vmcnt(0)
	v_fmac_f32_e32 v10, v5, v1
	global_store_dword v[6:7], v10, off
	s_andn2_b64 exec, exec, s[6:7]
	s_cbranch_execnz .LBB1_18
.LBB1_19:
	s_endpgm
	.section	.rodata,"a",@progbits
	.p2align	6, 0x0
	.amdhsa_kernel _Z25groupnorm_forward_kernel2PKfS0_S0_PfS1_S1_iiiii
		.amdhsa_group_segment_fixed_size 128
		.amdhsa_private_segment_fixed_size 0
		.amdhsa_kernarg_size 328
		.amdhsa_user_sgpr_count 2
		.amdhsa_user_sgpr_dispatch_ptr 0
		.amdhsa_user_sgpr_queue_ptr 0
		.amdhsa_user_sgpr_kernarg_segment_ptr 1
		.amdhsa_user_sgpr_dispatch_id 0
		.amdhsa_user_sgpr_kernarg_preload_length 0
		.amdhsa_user_sgpr_kernarg_preload_offset 0
		.amdhsa_user_sgpr_private_segment_size 0
		.amdhsa_uses_dynamic_stack 0
		.amdhsa_enable_private_segment 0
		.amdhsa_system_sgpr_workgroup_id_x 1
		.amdhsa_system_sgpr_workgroup_id_y 0
		.amdhsa_system_sgpr_workgroup_id_z 0
		.amdhsa_system_sgpr_workgroup_info 0
		.amdhsa_system_vgpr_workitem_id 0
		.amdhsa_next_free_vgpr 22
		.amdhsa_next_free_sgpr 29
		.amdhsa_accum_offset 24
		.amdhsa_reserve_vcc 1
		.amdhsa_float_round_mode_32 0
		.amdhsa_float_round_mode_16_64 0
		.amdhsa_float_denorm_mode_32 3
		.amdhsa_float_denorm_mode_16_64 3
		.amdhsa_dx10_clamp 1
		.amdhsa_ieee_mode 1
		.amdhsa_fp16_overflow 0
		.amdhsa_tg_split 0
		.amdhsa_exception_fp_ieee_invalid_op 0
		.amdhsa_exception_fp_denorm_src 0
		.amdhsa_exception_fp_ieee_div_zero 0
		.amdhsa_exception_fp_ieee_overflow 0
		.amdhsa_exception_fp_ieee_underflow 0
		.amdhsa_exception_fp_ieee_inexact 0
		.amdhsa_exception_int_div_zero 0
	.end_amdhsa_kernel
	.text
.Lfunc_end1:
	.size	_Z25groupnorm_forward_kernel2PKfS0_S0_PfS1_S1_iiiii, .Lfunc_end1-_Z25groupnorm_forward_kernel2PKfS0_S0_PfS1_S1_iiiii
                                        ; -- End function
	.set _Z25groupnorm_forward_kernel2PKfS0_S0_PfS1_S1_iiiii.num_vgpr, 22
	.set _Z25groupnorm_forward_kernel2PKfS0_S0_PfS1_S1_iiiii.num_agpr, 0
	.set _Z25groupnorm_forward_kernel2PKfS0_S0_PfS1_S1_iiiii.numbered_sgpr, 29
	.set _Z25groupnorm_forward_kernel2PKfS0_S0_PfS1_S1_iiiii.num_named_barrier, 0
	.set _Z25groupnorm_forward_kernel2PKfS0_S0_PfS1_S1_iiiii.private_seg_size, 0
	.set _Z25groupnorm_forward_kernel2PKfS0_S0_PfS1_S1_iiiii.uses_vcc, 1
	.set _Z25groupnorm_forward_kernel2PKfS0_S0_PfS1_S1_iiiii.uses_flat_scratch, 0
	.set _Z25groupnorm_forward_kernel2PKfS0_S0_PfS1_S1_iiiii.has_dyn_sized_stack, 0
	.set _Z25groupnorm_forward_kernel2PKfS0_S0_PfS1_S1_iiiii.has_recursion, 0
	.set _Z25groupnorm_forward_kernel2PKfS0_S0_PfS1_S1_iiiii.has_indirect_call, 0
	.section	.AMDGPU.csdata,"",@progbits
; Kernel info:
; codeLenInByte = 1704
; TotalNumSgprs: 35
; NumVgprs: 22
; NumAgprs: 0
; TotalNumVgprs: 22
; ScratchSize: 0
; MemoryBound: 0
; FloatMode: 240
; IeeeMode: 1
; LDSByteSize: 128 bytes/workgroup (compile time only)
; SGPRBlocks: 4
; VGPRBlocks: 2
; NumSGPRsForWavesPerEU: 35
; NumVGPRsForWavesPerEU: 22
; AccumOffset: 24
; Occupancy: 8
; WaveLimiterHint : 0
; COMPUTE_PGM_RSRC2:SCRATCH_EN: 0
; COMPUTE_PGM_RSRC2:USER_SGPR: 2
; COMPUTE_PGM_RSRC2:TRAP_HANDLER: 0
; COMPUTE_PGM_RSRC2:TGID_X_EN: 1
; COMPUTE_PGM_RSRC2:TGID_Y_EN: 0
; COMPUTE_PGM_RSRC2:TGID_Z_EN: 0
; COMPUTE_PGM_RSRC2:TIDIG_COMP_CNT: 0
; COMPUTE_PGM_RSRC3_GFX90A:ACCUM_OFFSET: 5
; COMPUTE_PGM_RSRC3_GFX90A:TG_SPLIT: 0
	.text
	.protected	_Z25groupnorm_backward_kernelPKfS0_S0_S0_S0_PfS1_S1_iiiii ; -- Begin function _Z25groupnorm_backward_kernelPKfS0_S0_S0_S0_PfS1_S1_iiiii
	.globl	_Z25groupnorm_backward_kernelPKfS0_S0_S0_S0_PfS1_S1_iiiii
	.p2align	8
	.type	_Z25groupnorm_backward_kernelPKfS0_S0_S0_S0_PfS1_S1_iiiii,@function
_Z25groupnorm_backward_kernelPKfS0_S0_S0_S0_PfS1_S1_iiiii: ; @_Z25groupnorm_backward_kernelPKfS0_S0_S0_S0_PfS1_S1_iiiii
; %bb.0:
	s_load_dwordx4 s[20:23], s[0:1], 0x48
	s_waitcnt lgkmcnt(0)
	s_load_dword s23, s[0:1], 0x64
	s_load_dwordx8 s[4:11], s[0:1], 0x0
	s_load_dwordx8 s[12:19], s[0:1], 0x20
	s_mov_b32 s3, 0
	v_cvt_f32_u32_e32 v1, s22
	s_sub_i32 s0, 0, s22
	s_waitcnt lgkmcnt(0)
	s_and_b32 s33, s23, 0xffff
	s_mul_i32 s37, s21, s20
	v_rcp_iflag_f32_e32 v1, v1
	s_mov_b32 s27, s3
	s_mul_i32 s26, s37, s2
	v_mov_b32_e32 v3, 0
	v_mul_f32_e32 v1, 0x4f7ffffe, v1
	v_cvt_u32_f32_e32 v1, v1
	v_cmp_gt_i32_e32 vcc, s37, v0
	v_mov_b32_e32 v2, v3
	v_readfirstlane_b32 s1, v1
	s_mul_i32 s0, s0, s1
	s_mul_hi_u32 s0, s1, s0
	s_add_i32 s1, s1, s0
	s_mul_hi_u32 s0, s2, s1
	s_mul_i32 s0, s0, s22
	s_sub_i32 s0, s2, s0
	s_sub_i32 s1, s0, s22
	s_cmp_ge_u32 s0, s22
	s_cselect_b32 s0, s1, s0
	s_sub_i32 s1, s0, s22
	s_cmp_ge_u32 s0, s22
	s_cselect_b32 s0, s1, s0
	s_lshl_b64 s[30:31], s[26:27], 2
	s_add_u32 s22, s4, s30
	s_addc_u32 s23, s5, s31
	s_mul_i32 s0, s0, s21
	s_add_u32 s24, s6, s30
	s_addc_u32 s25, s7, s31
	s_ashr_i32 s1, s0, 31
	s_lshl_b64 s[28:29], s[0:1], 2
	s_add_u32 s12, s12, s28
	s_addc_u32 s13, s13, s29
	s_lshl_b64 s[0:1], s[2:3], 2
	s_add_u32 s2, s8, s0
	s_addc_u32 s3, s9, s1
	s_add_u32 s0, s10, s0
	s_addc_u32 s1, s11, s1
	s_load_dword s34, s[2:3], 0x0
	s_load_dword s35, s[0:1], 0x0
	s_and_saveexec_b64 s[2:3], vcc
	s_cbranch_execz .LBB2_4
; %bb.1:
	s_abs_i32 s10, s20
	v_cvt_f32_u32_e32 v1, s10
	s_sub_i32 s0, 0, s10
	v_mov_b32_e32 v2, 0
	s_ashr_i32 s11, s20, 31
	v_rcp_iflag_f32_e32 v1, v1
	s_mov_b64 s[8:9], 0
	v_mov_b32_e32 v4, v0
	v_mul_f32_e32 v1, 0x4f7ffffe, v1
	v_cvt_u32_f32_e32 v1, v1
	v_mul_lo_u32 v3, s0, v1
	v_mul_hi_u32 v3, v1, v3
	v_add_u32_e32 v1, v1, v3
	v_mov_b32_e32 v3, v2
.LBB2_2:                                ; =>This Inner Loop Header: Depth=1
	v_sub_u32_e32 v7, 0, v4
	v_max_i32_e32 v7, v4, v7
	v_mul_hi_u32 v8, v7, v1
	v_mul_lo_u32 v9, v8, s10
	v_sub_u32_e32 v7, v7, v9
	v_add_u32_e32 v9, 1, v8
	v_cmp_le_u32_e64 s[0:1], s10, v7
	v_ashrrev_i32_e32 v5, 31, v4
	v_xor_b32_e32 v6, s11, v5
	v_cndmask_b32_e64 v8, v8, v9, s[0:1]
	v_subrev_u32_e32 v9, s10, v7
	v_cndmask_b32_e64 v7, v7, v9, s[0:1]
	v_add_u32_e32 v9, 1, v8
	v_cmp_le_u32_e64 s[0:1], s10, v7
	s_waitcnt lgkmcnt(0)
	v_mov_b32_e32 v13, s35
	v_cndmask_b32_e64 v7, v8, v9, s[0:1]
	v_xor_b32_e32 v7, v7, v6
	v_sub_u32_e32 v6, v7, v6
	v_lshlrev_b64 v[8:9], 2, v[4:5]
	v_ashrrev_i32_e32 v7, 31, v6
	v_lshl_add_u64 v[10:11], s[22:23], 0, v[8:9]
	v_lshl_add_u64 v[8:9], s[24:25], 0, v[8:9]
	;; [unrolled: 1-line block ×3, first 2 shown]
	global_load_dword v10, v[10:11], off
	s_nop 0
	global_load_dword v5, v[8:9], off
	global_load_dword v12, v[6:7], off
	v_add_u32_e32 v4, s33, v4
	v_cmp_le_i32_e64 s[0:1], s37, v4
	s_or_b64 s[8:9], s[0:1], s[8:9]
	s_waitcnt vmcnt(1)
	v_subrev_f32_e32 v11, s34, v5
	s_waitcnt vmcnt(0)
	v_pk_mul_f32 v[6:7], v[12:13], v[10:11]
	s_nop 0
	v_pk_mul_f32 v[8:9], v[6:7], v[6:7] op_sel:[0,1] op_sel_hi:[1,0]
	s_nop 0
	v_mov_b32_e32 v9, v6
	v_pk_add_f32 v[2:3], v[2:3], v[8:9]
	s_andn2_b64 exec, exec, s[8:9]
	s_cbranch_execnz .LBB2_2
; %bb.3:
	s_or_b64 exec, exec, s[8:9]
.LBB2_4:
	s_or_b64 exec, exec, s[2:3]
	v_mbcnt_lo_u32_b32 v1, -1, 0
	v_mbcnt_hi_u32_b32 v1, -1, v1
	v_and_b32_e32 v4, 64, v1
	v_add_u32_e32 v4, 64, v4
	v_xor_b32_e32 v5, 32, v1
	v_cmp_lt_i32_e64 s[0:1], v5, v4
	v_xor_b32_e32 v6, 16, v1
	v_lshrrev_b32_e32 v24, 6, v0
	v_cndmask_b32_e64 v5, v1, v5, s[0:1]
	v_lshlrev_b32_e32 v16, 2, v5
	ds_bpermute_b32 v5, v16, v3
	v_cmp_lt_i32_e64 s[0:1], v6, v4
	ds_bpermute_b32 v7, v16, v2
	s_lshr_b32 s36, s33, 6
	v_and_b32_e32 v23, 63, v0
	s_waitcnt lgkmcnt(0)
	v_add_f32_e32 v3, v3, v5
	v_cndmask_b32_e64 v5, v1, v6, s[0:1]
	v_lshlrev_b32_e32 v17, 2, v5
	ds_bpermute_b32 v5, v17, v3
	v_xor_b32_e32 v6, 8, v1
	v_cmp_lt_i32_e64 s[0:1], v6, v4
	v_add_f32_e32 v2, v2, v7
	v_lshlrev_b32_e32 v22, 2, v24
	s_waitcnt lgkmcnt(0)
	v_add_f32_e32 v3, v3, v5
	v_cndmask_b32_e64 v5, v1, v6, s[0:1]
	v_lshlrev_b32_e32 v18, 2, v5
	ds_bpermute_b32 v5, v18, v3
	v_xor_b32_e32 v6, 4, v1
	v_cmp_lt_i32_e64 s[0:1], v6, v4
	s_waitcnt lgkmcnt(0)
	v_add_f32_e32 v3, v3, v5
	v_cndmask_b32_e64 v5, v1, v6, s[0:1]
	ds_bpermute_b32 v6, v17, v2
	v_lshlrev_b32_e32 v19, 2, v5
	ds_bpermute_b32 v5, v19, v3
	s_waitcnt lgkmcnt(1)
	v_add_f32_e32 v2, v2, v6
	ds_bpermute_b32 v6, v18, v2
	s_waitcnt lgkmcnt(1)
	v_add_f32_e32 v3, v3, v5
	v_xor_b32_e32 v5, 2, v1
	v_cmp_lt_i32_e64 s[0:1], v5, v4
	s_waitcnt lgkmcnt(0)
	v_add_f32_e32 v2, v2, v6
	ds_bpermute_b32 v6, v19, v2
	v_cndmask_b32_e64 v5, v1, v5, s[0:1]
	v_lshlrev_b32_e32 v20, 2, v5
	ds_bpermute_b32 v5, v20, v3
	s_waitcnt lgkmcnt(1)
	v_add_f32_e32 v2, v2, v6
	ds_bpermute_b32 v6, v20, v2
	s_waitcnt lgkmcnt(1)
	v_add_f32_e32 v3, v3, v5
	v_xor_b32_e32 v5, 1, v1
	v_cmp_lt_i32_e64 s[0:1], v5, v4
	s_waitcnt lgkmcnt(0)
	v_add_f32_e32 v2, v2, v6
	v_cndmask_b32_e64 v1, v1, v5, s[0:1]
	v_lshlrev_b32_e32 v21, 2, v1
	ds_bpermute_b32 v1, v21, v3
	ds_bpermute_b32 v4, v21, v2
	v_cmp_gt_u32_e64 s[0:1], s36, v23
	v_mov_b32_e32 v5, 0
	s_waitcnt lgkmcnt(1)
	v_add_f32_e32 v1, v3, v1
	s_waitcnt lgkmcnt(0)
	v_add_f32_e32 v2, v2, v4
	ds_write2_b32 v22, v1, v2 offset1:16
	v_lshlrev_b32_e32 v2, 2, v23
	v_mov_b32_e32 v4, 0
	s_waitcnt lgkmcnt(0)
	s_barrier
	s_and_saveexec_b64 s[2:3], s[0:1]
; %bb.5:
	ds_read_b32 v4, v2
; %bb.6:
	s_or_b64 exec, exec, s[2:3]
	s_and_saveexec_b64 s[2:3], s[0:1]
; %bb.7:
	ds_read_b32 v5, v2 offset:64
; %bb.8:
	s_or_b64 exec, exec, s[2:3]
	s_waitcnt lgkmcnt(0)
	ds_bpermute_b32 v6, v16, v4
	ds_bpermute_b32 v7, v16, v5
	s_waitcnt lgkmcnt(0)
	v_pk_add_f32 v[4:5], v[4:5], v[6:7]
	ds_bpermute_b32 v6, v17, v4
	ds_bpermute_b32 v7, v17, v5
	s_waitcnt lgkmcnt(0)
	v_pk_add_f32 v[4:5], v[4:5], v[6:7]
	;; [unrolled: 4-line block ×5, first 2 shown]
	ds_bpermute_b32 v6, v21, v4
	ds_bpermute_b32 v7, v21, v5
	s_and_saveexec_b64 s[0:1], vcc
	s_cbranch_execz .LBB2_11
; %bb.9:
	v_cvt_f32_i32_e32 v3, s37
	s_waitcnt lgkmcnt(0)
	v_pk_add_f32 v[4:5], v[4:5], v[6:7]
	s_nop 0
	v_div_scale_f32 v1, s[2:3], v3, v3, v5
	v_rcp_f32_e32 v6, v1
	v_div_scale_f32 v7, vcc, v5, v3, v5
	v_div_scale_f32 v8, s[2:3], v3, v3, v4
	v_fma_f32 v9, -v1, v6, 1.0
	v_fmac_f32_e32 v6, v9, v6
	v_mul_f32_e32 v9, v7, v6
	v_fma_f32 v10, -v1, v9, v7
	v_fmac_f32_e32 v9, v10, v6
	v_fma_f32 v1, -v1, v9, v7
	v_rcp_f32_e32 v7, v8
	v_div_fmas_f32 v1, v1, v6, v9
	v_div_fixup_f32 v1, v1, v3, v5
	s_add_u32 s2, s14, s30
	v_fma_f32 v5, -v8, v7, 1.0
	v_fmac_f32_e32 v7, v5, v7
	v_div_scale_f32 v5, vcc, v4, v3, v4
	v_mul_f32_e32 v6, v5, v7
	v_fma_f32 v9, -v8, v6, v5
	s_addc_u32 s3, s15, s31
	s_abs_i32 s10, s20
	v_fmac_f32_e32 v6, v9, v7
	v_cvt_f32_u32_e32 v9, s10
	v_fma_f32 v5, -v8, v6, v5
	s_abs_i32 s11, s21
	v_div_fmas_f32 v5, v5, v7, v6
	v_cvt_f32_u32_e32 v7, s11
	v_rcp_iflag_f32_e32 v6, v9
	v_div_fixup_f32 v4, v5, v3, v4
	s_sub_i32 s8, 0, s10
	v_rcp_iflag_f32_e32 v5, v7
	v_mul_f32_e32 v3, 0x4f7ffffe, v6
	v_cvt_u32_f32_e32 v3, v3
	s_ashr_i32 s14, s20, 31
	v_mul_f32_e32 v5, 0x4f7ffffe, v5
	v_cvt_u32_f32_e32 v5, v5
	v_mul_lo_u32 v6, s8, v3
	v_mul_hi_u32 v6, v3, v6
	s_sub_i32 s8, 0, s11
	v_add_u32_e32 v3, v3, v6
	v_mul_lo_u32 v6, s8, v5
	v_mul_hi_u32 v6, v5, v6
	v_add_u32_e32 v5, v5, v6
	s_mov_b64 s[8:9], 0
	v_mov_b32_e32 v6, v0
.LBB2_10:                               ; =>This Inner Loop Header: Depth=1
	v_ashrrev_i32_e32 v7, 31, v6
	v_lshlrev_b64 v[8:9], 2, v[6:7]
	v_lshl_add_u64 v[10:11], s[22:23], 0, v[8:9]
	global_load_dword v10, v[10:11], off
	v_sub_u32_e32 v11, 0, v6
	v_lshl_add_u64 v[12:13], s[24:25], 0, v[8:9]
	v_max_i32_e32 v11, v6, v11
	global_load_dword v14, v[12:13], off
	v_mul_hi_u32 v12, v11, v3
	v_mul_lo_u32 v13, v12, s10
	v_sub_u32_e32 v11, v11, v13
	v_add_u32_e32 v13, 1, v12
	v_cmp_le_u32_e32 vcc, s10, v11
	v_xor_b32_e32 v7, s14, v7
	v_add_u32_e32 v6, s33, v6
	v_cndmask_b32_e32 v12, v12, v13, vcc
	v_subrev_u32_e32 v13, s10, v11
	v_cndmask_b32_e32 v11, v11, v13, vcc
	v_add_u32_e32 v13, 1, v12
	v_cmp_le_u32_e32 vcc, s10, v11
	v_lshl_add_u64 v[8:9], s[2:3], 0, v[8:9]
	s_nop 0
	v_cndmask_b32_e32 v11, v12, v13, vcc
	v_xor_b32_e32 v11, v11, v7
	v_sub_u32_e32 v7, v11, v7
	v_sub_u32_e32 v12, 0, v7
	v_ashrrev_i32_e32 v11, 31, v7
	v_max_i32_e32 v7, v7, v12
	v_mul_hi_u32 v12, v7, v5
	v_mul_lo_u32 v12, v12, s11
	v_sub_u32_e32 v7, v7, v12
	v_subrev_u32_e32 v12, s11, v7
	v_cmp_le_u32_e32 vcc, s11, v7
	s_nop 1
	v_cndmask_b32_e32 v7, v7, v12, vcc
	v_subrev_u32_e32 v12, s11, v7
	v_cmp_le_u32_e32 vcc, s11, v7
	s_nop 1
	v_cndmask_b32_e32 v7, v7, v12, vcc
	v_xor_b32_e32 v7, v7, v11
	v_sub_u32_e32 v12, v7, v11
	v_ashrrev_i32_e32 v13, 31, v12
	v_lshl_add_u64 v[12:13], v[12:13], 2, s[12:13]
	global_load_dword v12, v[12:13], off
	v_mov_b32_e32 v11, s35
	v_cmp_le_i32_e32 vcc, s37, v6
	s_or_b64 s[8:9], vcc, s[8:9]
	s_waitcnt vmcnt(1)
	v_subrev_f32_e32 v13, s34, v14
	s_waitcnt vmcnt(0)
	v_pk_mul_f32 v[10:11], v[10:11], v[12:13]
	s_nop 0
	v_sub_f32_e32 v7, v10, v4
	v_fma_f32 v7, -v11, v1, v7
	v_mul_f32_e32 v7, s35, v7
	global_store_dword v[8:9], v7, off
	s_andn2_b64 exec, exec, s[8:9]
	s_cbranch_execnz .LBB2_10
.LBB2_11:
	s_or_b64 exec, exec, s[0:1]
	v_cvt_f32_u32_e32 v3, s33
	s_add_u32 s12, s16, s28
	s_addc_u32 s13, s17, s29
	s_add_u32 s14, s18, s28
	v_rcp_iflag_f32_e32 v3, v3
	s_addc_u32 s15, s19, s29
	s_sub_i32 s0, 0, s33
	v_or_b32_e32 v1, 64, v22
	v_mul_f32_e32 v3, 0x4f7ffffe, v3
	v_cvt_u32_f32_e32 v3, v3
	s_nop 0
	v_readfirstlane_b32 s1, v3
	s_mul_i32 s0, s0, s1
	s_mul_hi_u32 s0, s1, s0
	s_add_i32 s1, s1, s0
	s_mul_hi_u32 s0, s20, s1
	s_mul_i32 s0, s0, s33
	s_sub_i32 s0, s20, s0
	s_sub_i32 s1, s0, s33
	s_cmp_ge_u32 s0, s33
	s_cselect_b32 s0, s1, s0
	s_sub_i32 s1, s0, s33
	s_cmp_ge_u32 s0, s33
	s_cselect_b32 s0, s1, s0
	s_cmp_lg_u32 s0, 0
	s_cbranch_scc0 .LBB2_23
; %bb.12:
	v_cvt_f32_u32_e32 v3, s36
	s_sub_i32 s1, 0, s36
	s_add_i32 s0, s21, s36
	s_add_i32 s0, s0, -1
	v_rcp_iflag_f32_e32 v3, v3
	s_ashr_i32 s2, s0, 31
	s_abs_i32 s0, s0
	v_mul_f32_e32 v3, 0x4f7ffffe, v3
	v_cvt_u32_f32_e32 v3, v3
	s_nop 0
	v_readfirstlane_b32 s3, v3
	s_mul_i32 s1, s1, s3
	s_mul_hi_u32 s1, s3, s1
	s_add_i32 s3, s3, s1
	s_mul_hi_u32 s1, s0, s3
	s_mul_i32 s3, s1, s36
	s_sub_i32 s0, s0, s3
	s_add_i32 s8, s1, 1
	s_sub_i32 s3, s0, s36
	s_cmp_ge_u32 s0, s36
	s_cselect_b32 s1, s8, s1
	s_cselect_b32 s0, s3, s0
	s_add_i32 s3, s1, 1
	s_cmp_ge_u32 s0, s36
	s_cselect_b32 s0, s3, s1
	s_xor_b32 s0, s0, s2
	s_sub_i32 s16, s0, s2
	s_cmp_lt_i32 s16, 1
	s_cbranch_scc1 .LBB2_22
; %bb.13:
	v_mov_b32_e32 v3, 0
	v_lshl_add_u64 v[8:9], s[26:27], 2, v[2:3]
	v_cmp_gt_i32_e32 vcc, s20, v23
	s_mov_b32 s17, 0
	v_cmp_eq_u32_e64 s[0:1], 0, v23
	v_lshl_add_u64 v[4:5], s[6:7], 0, v[8:9]
	s_waitcnt lgkmcnt(1)
	v_mul_lo_u32 v6, s20, v24
	s_mul_i32 s18, s20, s36
	v_lshl_add_u64 v[8:9], s[4:5], 0, v[8:9]
	s_mov_b64 s[4:5], 0x100
	s_branch .LBB2_15
.LBB2_14:                               ;   in Loop: Header=BB2_15 Depth=1
	s_or_b64 exec, exec, s[6:7]
	s_add_i32 s17, s17, 1
	s_cmp_lg_u32 s17, s16
	v_add_u32_e32 v6, s18, v6
	s_cbranch_scc0 .LBB2_22
.LBB2_15:                               ; =>This Loop Header: Depth=1
                                        ;     Child Loop BB2_18 Depth 2
	s_mul_i32 s2, s17, s36
	v_add_u32_e32 v2, s2, v24
	v_cmp_gt_i32_e64 s[2:3], s21, v2
	s_and_saveexec_b64 s[6:7], s[2:3]
	s_cbranch_execz .LBB2_14
; %bb.16:                               ;   in Loop: Header=BB2_15 Depth=1
	v_mov_b32_e32 v11, 0
	s_waitcnt lgkmcnt(1)
	v_mov_b32_e32 v10, v11
	s_and_saveexec_b64 s[8:9], vcc
	s_cbranch_execz .LBB2_20
; %bb.17:                               ;   in Loop: Header=BB2_15 Depth=1
	s_waitcnt lgkmcnt(0)
	v_ashrrev_i32_e32 v7, 31, v6
	v_lshlrev_b64 v[10:11], 2, v[6:7]
	v_lshl_add_u64 v[12:13], v[4:5], 0, v[10:11]
	v_lshl_add_u64 v[14:15], v[8:9], 0, v[10:11]
	v_mov_b32_e32 v10, 0
	s_mov_b64 s[10:11], 0
	v_mov_b32_e32 v7, v23
	v_mov_b32_e32 v11, v10
.LBB2_18:                               ;   Parent Loop BB2_15 Depth=1
                                        ; =>  This Inner Loop Header: Depth=2
	global_load_dword v25, v[12:13], off
	global_load_dword v27, v[14:15], off
	v_add_u32_e32 v7, 64, v7
	v_cmp_le_i32_e64 s[2:3], s20, v7
	v_lshl_add_u64 v[12:13], v[12:13], 0, s[4:5]
	v_lshl_add_u64 v[14:15], v[14:15], 0, s[4:5]
	s_or_b64 s[10:11], s[2:3], s[10:11]
	s_waitcnt vmcnt(1)
	v_subrev_f32_e32 v25, s34, v25
	v_mul_f32_e32 v25, s35, v25
	s_waitcnt vmcnt(0)
	v_mul_f32_e32 v26, v27, v25
	v_pk_add_f32 v[10:11], v[10:11], v[26:27]
	s_andn2_b64 exec, exec, s[10:11]
	s_cbranch_execnz .LBB2_18
; %bb.19:                               ;   in Loop: Header=BB2_15 Depth=1
	s_or_b64 exec, exec, s[10:11]
.LBB2_20:                               ;   in Loop: Header=BB2_15 Depth=1
	s_or_b64 exec, exec, s[8:9]
	s_waitcnt lgkmcnt(0)
	ds_bpermute_b32 v7, v16, v10
	ds_bpermute_b32 v12, v16, v11
	s_waitcnt lgkmcnt(1)
	v_add_f32_e32 v7, v10, v7
	s_waitcnt lgkmcnt(0)
	v_add_f32_e32 v10, v11, v12
	ds_bpermute_b32 v11, v17, v7
	ds_bpermute_b32 v12, v17, v10
	s_waitcnt lgkmcnt(1)
	v_add_f32_e32 v7, v7, v11
	s_waitcnt lgkmcnt(0)
	v_add_f32_e32 v10, v10, v12
	ds_bpermute_b32 v11, v18, v7
	ds_bpermute_b32 v12, v18, v10
	s_waitcnt lgkmcnt(1)
	v_add_f32_e32 v7, v7, v11
	s_waitcnt lgkmcnt(0)
	v_add_f32_e32 v10, v10, v12
	ds_bpermute_b32 v11, v19, v7
	ds_bpermute_b32 v12, v19, v10
	s_waitcnt lgkmcnt(1)
	v_add_f32_e32 v7, v7, v11
	s_waitcnt lgkmcnt(0)
	v_add_f32_e32 v10, v10, v12
	ds_bpermute_b32 v11, v20, v7
	ds_bpermute_b32 v12, v20, v10
	s_waitcnt lgkmcnt(1)
	v_add_f32_e32 v7, v7, v11
	s_waitcnt lgkmcnt(0)
	v_add_f32_e32 v11, v10, v12
	ds_bpermute_b32 v10, v21, v7
	ds_bpermute_b32 v12, v21, v11
	s_and_b64 exec, exec, s[0:1]
	s_cbranch_execz .LBB2_14
; %bb.21:                               ;   in Loop: Header=BB2_15 Depth=1
	v_lshlrev_b64 v[14:15], 2, v[2:3]
	v_lshl_add_u64 v[26:27], s[14:15], 0, v[14:15]
	v_lshl_add_u64 v[14:15], s[12:13], 0, v[14:15]
	s_waitcnt lgkmcnt(1)
	v_add_f32_e32 v7, v7, v10
	s_waitcnt lgkmcnt(0)
	v_add_f32_e32 v2, v11, v12
	global_atomic_add_f32 v[14:15], v7, off
	global_atomic_add_f32 v[26:27], v2, off
	s_branch .LBB2_14
.LBB2_22:
	s_cbranch_execz .LBB2_24
	s_branch .LBB2_47
.LBB2_23:
.LBB2_24:
	s_cmp_lt_i32 s21, 1
	s_cbranch_scc1 .LBB2_47
; %bb.25:
	s_ashr_i32 s11, s20, 31
	s_cmp_gt_u32 s33, 63
	s_cselect_b64 s[6:7], -1, 0
	s_add_i32 s8, s36, -1
	s_bfe_u32 s37, s33, 0x30006
	s_cmp_gt_u32 s8, 6
	s_cselect_b64 s[8:9], -1, 0
	s_and_b32 s36, s36, 0x3f8
	s_cmp_lg_u32 s37, 0
	v_cndmask_b32_e64 v2, 0, 1, s[6:7]
	s_cselect_b64 s[26:27], -1, 0
	v_cmp_ne_u32_e64 s[6:7], 1, v2
	v_cndmask_b32_e64 v2, 0, 1, s[8:9]
	s_mov_b32 s10, s20
	s_mov_b32 s17, 0
	v_cmp_ne_u32_e64 s[8:9], 1, v2
	v_cndmask_b32_e64 v2, 0, 1, s[26:27]
	v_cmp_gt_i32_e64 s[0:1], s20, v0
	v_cmp_eq_u32_e64 s[2:3], 0, v23
	v_cmp_eq_u32_e64 s[4:5], 0, v0
	s_waitcnt lgkmcnt(1)
	v_mov_b32_e32 v6, 0
	s_lshl_b64 s[18:19], s[10:11], 2
	v_cmp_ne_u32_e64 s[10:11], 1, v2
	s_mov_b32 s16, s17
	s_branch .LBB2_27
.LBB2_26:                               ;   in Loop: Header=BB2_27 Depth=1
	s_or_b64 exec, exec, s[26:27]
	s_add_u32 s22, s22, s18
	s_addc_u32 s23, s23, s19
	s_add_u32 s24, s24, s18
	s_addc_u32 s25, s25, s19
	s_add_i32 s16, s16, 1
	s_cmp_eq_u32 s16, s21
	s_cbranch_scc1 .LBB2_47
.LBB2_27:                               ; =>This Loop Header: Depth=1
                                        ;     Child Loop BB2_29 Depth 2
                                        ;     Child Loop BB2_37 Depth 2
	;; [unrolled: 1-line block ×3, first 2 shown]
	v_mov_b32_e32 v3, 0
	v_mov_b32_e32 v2, 0
	s_and_saveexec_b64 s[26:27], s[0:1]
	s_cbranch_execz .LBB2_31
; %bb.28:                               ;   in Loop: Header=BB2_27 Depth=1
	v_mov_b32_e32 v2, 0
	s_mov_b64 s[28:29], 0
	v_mov_b32_e32 v4, v0
	v_mov_b32_e32 v3, v2
.LBB2_29:                               ;   Parent Loop BB2_27 Depth=1
                                        ; =>  This Inner Loop Header: Depth=2
	v_ashrrev_i32_e32 v5, 31, v4
	v_lshlrev_b64 v[8:9], 2, v[4:5]
	v_lshl_add_u64 v[10:11], s[24:25], 0, v[8:9]
	global_load_dword v5, v[10:11], off
	v_lshl_add_u64 v[8:9], s[22:23], 0, v[8:9]
	global_load_dword v9, v[8:9], off
	v_add_u32_e32 v4, s33, v4
	v_cmp_le_i32_e32 vcc, s20, v4
	s_or_b64 s[28:29], vcc, s[28:29]
	s_waitcnt vmcnt(1)
	v_subrev_f32_e32 v5, s34, v5
	v_mul_f32_e32 v5, s35, v5
	s_waitcnt vmcnt(0)
	v_mul_f32_e32 v8, v9, v5
	v_pk_add_f32 v[2:3], v[2:3], v[8:9]
	s_andn2_b64 exec, exec, s[28:29]
	s_cbranch_execnz .LBB2_29
; %bb.30:                               ;   in Loop: Header=BB2_27 Depth=1
	s_or_b64 exec, exec, s[28:29]
.LBB2_31:                               ;   in Loop: Header=BB2_27 Depth=1
	s_or_b64 exec, exec, s[26:27]
	ds_bpermute_b32 v4, v16, v2
	ds_bpermute_b32 v5, v16, v3
	s_waitcnt lgkmcnt(1)
	v_add_f32_e32 v2, v2, v4
	s_waitcnt lgkmcnt(0)
	v_add_f32_e32 v3, v3, v5
	ds_bpermute_b32 v4, v17, v2
	ds_bpermute_b32 v5, v17, v3
	s_waitcnt lgkmcnt(1)
	v_add_f32_e32 v2, v2, v4
	s_waitcnt lgkmcnt(0)
	v_add_f32_e32 v3, v3, v5
	;; [unrolled: 6-line block ×5, first 2 shown]
	ds_bpermute_b32 v3, v21, v2
	ds_bpermute_b32 v5, v21, v4
	s_and_saveexec_b64 s[26:27], s[2:3]
	s_cbranch_execz .LBB2_33
; %bb.32:                               ;   in Loop: Header=BB2_27 Depth=1
	s_waitcnt lgkmcnt(1)
	v_add_f32_e32 v2, v2, v3
	s_waitcnt lgkmcnt(0)
	v_add_f32_e32 v4, v4, v5
	ds_write_b32 v22, v2
	ds_write_b32 v1, v4
.LBB2_33:                               ;   in Loop: Header=BB2_27 Depth=1
	s_or_b64 exec, exec, s[26:27]
	s_waitcnt lgkmcnt(0)
	s_barrier
	s_and_saveexec_b64 s[26:27], s[4:5]
	s_cbranch_execz .LBB2_26
; %bb.34:                               ;   in Loop: Header=BB2_27 Depth=1
	s_and_b64 vcc, exec, s[6:7]
	s_cbranch_vccnz .LBB2_39
; %bb.35:                               ;   in Loop: Header=BB2_27 Depth=1
	s_and_b64 vcc, exec, s[8:9]
	s_cbranch_vccnz .LBB2_40
; %bb.36:                               ;   in Loop: Header=BB2_27 Depth=1
	s_mov_b32 s28, 0
	v_mov_b32_e32 v3, 0
	v_mov_b32_e32 v2, 0
	s_mov_b32 s29, 0
.LBB2_37:                               ;   Parent Loop BB2_27 Depth=1
                                        ; =>  This Inner Loop Header: Depth=2
	v_mov_b32_e32 v4, s28
	ds_read_b128 v[8:11], v4
	ds_read_b128 v[12:15], v4 offset:64
	ds_read_b128 v[24:27], v4 offset:16
	;; [unrolled: 1-line block ×3, first 2 shown]
	s_add_i32 s29, s29, 8
	s_waitcnt lgkmcnt(3)
	v_mov_b32_e32 v4, v8
	s_waitcnt lgkmcnt(2)
	v_mov_b32_e32 v5, v12
	v_mov_b32_e32 v12, v9
	v_pk_add_f32 v[2:3], v[2:3], v[4:5]
	v_mov_b32_e32 v8, v10
	v_mov_b32_e32 v9, v14
	v_pk_add_f32 v[2:3], v[2:3], v[12:13]
	v_mov_b32_e32 v14, v11
	v_pk_add_f32 v[2:3], v[2:3], v[8:9]
	s_waitcnt lgkmcnt(1)
	v_mov_b32_e32 v10, v24
	s_waitcnt lgkmcnt(0)
	v_mov_b32_e32 v11, v28
	v_pk_add_f32 v[2:3], v[2:3], v[14:15]
	v_mov_b32_e32 v28, v25
	v_pk_add_f32 v[2:3], v[2:3], v[10:11]
	v_mov_b32_e32 v24, v26
	v_mov_b32_e32 v25, v30
	v_pk_add_f32 v[2:3], v[2:3], v[28:29]
	s_add_i32 s28, s28, 32
	v_mov_b32_e32 v30, v27
	v_pk_add_f32 v[2:3], v[2:3], v[24:25]
	s_cmp_eq_u32 s36, s29
	v_pk_add_f32 v[2:3], v[2:3], v[30:31]
	s_cbranch_scc0 .LBB2_37
; %bb.38:                               ;   in Loop: Header=BB2_27 Depth=1
	s_mov_b32 s28, s36
	s_and_b64 vcc, exec, s[10:11]
	s_cbranch_vccz .LBB2_41
	s_branch .LBB2_43
.LBB2_39:                               ;   in Loop: Header=BB2_27 Depth=1
	v_mov_b32_e32 v3, 0
	v_mov_b32_e32 v2, 0
	s_branch .LBB2_43
.LBB2_40:                               ;   in Loop: Header=BB2_27 Depth=1
	s_mov_b32 s28, s17
	s_mov_b32 s29, s17
	v_mov_b64_e32 v[2:3], s[28:29]
	s_mov_b32 s28, 0
	s_and_b64 vcc, exec, s[10:11]
	s_cbranch_vccnz .LBB2_43
.LBB2_41:                               ;   in Loop: Header=BB2_27 Depth=1
	s_lshl_b32 s28, s28, 2
	s_mov_b32 s29, s37
.LBB2_42:                               ;   Parent Loop BB2_27 Depth=1
                                        ; =>  This Inner Loop Header: Depth=2
	v_mov_b32_e32 v4, s28
	ds_read2_b32 v[4:5], v4 offset1:16
	s_add_i32 s28, s28, 4
	s_add_i32 s29, s29, -1
	s_cmp_lg_u32 s29, 0
	s_waitcnt lgkmcnt(0)
	v_pk_add_f32 v[2:3], v[2:3], v[4:5]
	s_cbranch_scc1 .LBB2_42
.LBB2_43:                               ;   in Loop: Header=BB2_27 Depth=1
	s_mov_b64 s[30:31], exec
	v_mbcnt_lo_u32_b32 v4, s30, 0
	v_mbcnt_hi_u32_b32 v4, s31, v4
	v_cmp_eq_u32_e32 vcc, 0, v4
	s_and_saveexec_b64 s[28:29], vcc
	s_cbranch_execz .LBB2_45
; %bb.44:                               ;   in Loop: Header=BB2_27 Depth=1
	s_lshl_b64 s[38:39], s[16:17], 2
	s_add_u32 s38, s12, s38
	s_addc_u32 s39, s13, s39
	s_bcnt1_i32_b64 s30, s[30:31]
	v_cvt_f32_ubyte0_e32 v4, s30
	v_mul_f32_e32 v2, v2, v4
	global_atomic_add_f32 v6, v2, s[38:39]
.LBB2_45:                               ;   in Loop: Header=BB2_27 Depth=1
	s_or_b64 exec, exec, s[28:29]
	s_mov_b64 s[28:29], exec
	v_mbcnt_lo_u32_b32 v2, s28, 0
	v_mbcnt_hi_u32_b32 v2, s29, v2
	v_cmp_eq_u32_e32 vcc, 0, v2
	s_and_b64 s[30:31], exec, vcc
	s_mov_b64 exec, s[30:31]
	s_cbranch_execz .LBB2_26
; %bb.46:                               ;   in Loop: Header=BB2_27 Depth=1
	s_lshl_b64 s[30:31], s[16:17], 2
	s_add_u32 s30, s14, s30
	s_addc_u32 s31, s15, s31
	s_bcnt1_i32_b64 s28, s[28:29]
	v_cvt_f32_ubyte0_e32 v2, s28
	v_mul_f32_e32 v2, v3, v2
	global_atomic_add_f32 v6, v2, s[30:31]
	s_branch .LBB2_26
.LBB2_47:
	s_endpgm
	.section	.rodata,"a",@progbits
	.p2align	6, 0x0
	.amdhsa_kernel _Z25groupnorm_backward_kernelPKfS0_S0_S0_S0_PfS1_S1_iiiii
		.amdhsa_group_segment_fixed_size 128
		.amdhsa_private_segment_fixed_size 0
		.amdhsa_kernarg_size 344
		.amdhsa_user_sgpr_count 2
		.amdhsa_user_sgpr_dispatch_ptr 0
		.amdhsa_user_sgpr_queue_ptr 0
		.amdhsa_user_sgpr_kernarg_segment_ptr 1
		.amdhsa_user_sgpr_dispatch_id 0
		.amdhsa_user_sgpr_kernarg_preload_length 0
		.amdhsa_user_sgpr_kernarg_preload_offset 0
		.amdhsa_user_sgpr_private_segment_size 0
		.amdhsa_uses_dynamic_stack 0
		.amdhsa_enable_private_segment 0
		.amdhsa_system_sgpr_workgroup_id_x 1
		.amdhsa_system_sgpr_workgroup_id_y 0
		.amdhsa_system_sgpr_workgroup_id_z 0
		.amdhsa_system_sgpr_workgroup_info 0
		.amdhsa_system_vgpr_workitem_id 0
		.amdhsa_next_free_vgpr 32
		.amdhsa_next_free_sgpr 40
		.amdhsa_accum_offset 32
		.amdhsa_reserve_vcc 1
		.amdhsa_float_round_mode_32 0
		.amdhsa_float_round_mode_16_64 0
		.amdhsa_float_denorm_mode_32 3
		.amdhsa_float_denorm_mode_16_64 3
		.amdhsa_dx10_clamp 1
		.amdhsa_ieee_mode 1
		.amdhsa_fp16_overflow 0
		.amdhsa_tg_split 0
		.amdhsa_exception_fp_ieee_invalid_op 0
		.amdhsa_exception_fp_denorm_src 0
		.amdhsa_exception_fp_ieee_div_zero 0
		.amdhsa_exception_fp_ieee_overflow 0
		.amdhsa_exception_fp_ieee_underflow 0
		.amdhsa_exception_fp_ieee_inexact 0
		.amdhsa_exception_int_div_zero 0
	.end_amdhsa_kernel
	.text
.Lfunc_end2:
	.size	_Z25groupnorm_backward_kernelPKfS0_S0_S0_S0_PfS1_S1_iiiii, .Lfunc_end2-_Z25groupnorm_backward_kernelPKfS0_S0_S0_S0_PfS1_S1_iiiii
                                        ; -- End function
	.set _Z25groupnorm_backward_kernelPKfS0_S0_S0_S0_PfS1_S1_iiiii.num_vgpr, 32
	.set _Z25groupnorm_backward_kernelPKfS0_S0_S0_S0_PfS1_S1_iiiii.num_agpr, 0
	.set _Z25groupnorm_backward_kernelPKfS0_S0_S0_S0_PfS1_S1_iiiii.numbered_sgpr, 40
	.set _Z25groupnorm_backward_kernelPKfS0_S0_S0_S0_PfS1_S1_iiiii.num_named_barrier, 0
	.set _Z25groupnorm_backward_kernelPKfS0_S0_S0_S0_PfS1_S1_iiiii.private_seg_size, 0
	.set _Z25groupnorm_backward_kernelPKfS0_S0_S0_S0_PfS1_S1_iiiii.uses_vcc, 1
	.set _Z25groupnorm_backward_kernelPKfS0_S0_S0_S0_PfS1_S1_iiiii.uses_flat_scratch, 0
	.set _Z25groupnorm_backward_kernelPKfS0_S0_S0_S0_PfS1_S1_iiiii.has_dyn_sized_stack, 0
	.set _Z25groupnorm_backward_kernelPKfS0_S0_S0_S0_PfS1_S1_iiiii.has_recursion, 0
	.set _Z25groupnorm_backward_kernelPKfS0_S0_S0_S0_PfS1_S1_iiiii.has_indirect_call, 0
	.section	.AMDGPU.csdata,"",@progbits
; Kernel info:
; codeLenInByte = 3508
; TotalNumSgprs: 46
; NumVgprs: 32
; NumAgprs: 0
; TotalNumVgprs: 32
; ScratchSize: 0
; MemoryBound: 0
; FloatMode: 240
; IeeeMode: 1
; LDSByteSize: 128 bytes/workgroup (compile time only)
; SGPRBlocks: 5
; VGPRBlocks: 3
; NumSGPRsForWavesPerEU: 46
; NumVGPRsForWavesPerEU: 32
; AccumOffset: 32
; Occupancy: 8
; WaveLimiterHint : 0
; COMPUTE_PGM_RSRC2:SCRATCH_EN: 0
; COMPUTE_PGM_RSRC2:USER_SGPR: 2
; COMPUTE_PGM_RSRC2:TRAP_HANDLER: 0
; COMPUTE_PGM_RSRC2:TGID_X_EN: 1
; COMPUTE_PGM_RSRC2:TGID_Y_EN: 0
; COMPUTE_PGM_RSRC2:TGID_Z_EN: 0
; COMPUTE_PGM_RSRC2:TIDIG_COMP_CNT: 0
; COMPUTE_PGM_RSRC3_GFX90A:ACCUM_OFFSET: 7
; COMPUTE_PGM_RSRC3_GFX90A:TG_SPLIT: 0
	.text
	.p2alignl 6, 3212836864
	.fill 256, 4, 3212836864
	.section	.AMDGPU.gpr_maximums,"",@progbits
	.set amdgpu.max_num_vgpr, 0
	.set amdgpu.max_num_agpr, 0
	.set amdgpu.max_num_sgpr, 0
	.text
	.type	__hip_cuid_8671a078dbc2cb59,@object ; @__hip_cuid_8671a078dbc2cb59
	.section	.bss,"aw",@nobits
	.globl	__hip_cuid_8671a078dbc2cb59
__hip_cuid_8671a078dbc2cb59:
	.byte	0                               ; 0x0
	.size	__hip_cuid_8671a078dbc2cb59, 1

	.ident	"AMD clang version 22.0.0git (https://github.com/RadeonOpenCompute/llvm-project roc-7.2.4 26084 f58b06dce1f9c15707c5f808fd002e18c2accf7e)"
	.section	".note.GNU-stack","",@progbits
	.addrsig
	.addrsig_sym __hip_cuid_8671a078dbc2cb59
	.amdgpu_metadata
---
amdhsa.kernels:
  - .agpr_count:     0
    .args:
      - .actual_access:  read_only
        .address_space:  global
        .offset:         0
        .size:           8
        .value_kind:     global_buffer
      - .actual_access:  read_only
        .address_space:  global
        .offset:         8
        .size:           8
        .value_kind:     global_buffer
      - .actual_access:  read_only
        .address_space:  global
        .offset:         16
        .size:           8
        .value_kind:     global_buffer
      - .actual_access:  write_only
        .address_space:  global
        .offset:         24
        .size:           8
        .value_kind:     global_buffer
      - .actual_access:  write_only
        .address_space:  global
        .offset:         32
        .size:           8
        .value_kind:     global_buffer
      - .actual_access:  write_only
        .address_space:  global
        .offset:         40
        .size:           8
        .value_kind:     global_buffer
      - .offset:         48
        .size:           4
        .value_kind:     by_value
      - .offset:         52
        .size:           4
        .value_kind:     by_value
      - .offset:         56
        .size:           4
        .value_kind:     by_value
      - .offset:         60
        .size:           4
        .value_kind:     by_value
      - .offset:         64
        .size:           4
        .value_kind:     by_value
      - .offset:         72
        .size:           4
        .value_kind:     hidden_block_count_x
      - .offset:         76
        .size:           4
        .value_kind:     hidden_block_count_y
      - .offset:         80
        .size:           4
        .value_kind:     hidden_block_count_z
      - .offset:         84
        .size:           2
        .value_kind:     hidden_group_size_x
      - .offset:         86
        .size:           2
        .value_kind:     hidden_group_size_y
      - .offset:         88
        .size:           2
        .value_kind:     hidden_group_size_z
      - .offset:         90
        .size:           2
        .value_kind:     hidden_remainder_x
      - .offset:         92
        .size:           2
        .value_kind:     hidden_remainder_y
      - .offset:         94
        .size:           2
        .value_kind:     hidden_remainder_z
      - .offset:         112
        .size:           8
        .value_kind:     hidden_global_offset_x
      - .offset:         120
        .size:           8
        .value_kind:     hidden_global_offset_y
      - .offset:         128
        .size:           8
        .value_kind:     hidden_global_offset_z
      - .offset:         136
        .size:           2
        .value_kind:     hidden_grid_dims
    .group_segment_fixed_size: 128
    .kernarg_segment_align: 8
    .kernarg_segment_size: 328
    .language:       OpenCL C
    .language_version:
      - 2
      - 0
    .max_flat_workgroup_size: 1024
    .name:           _Z24groupnorm_forward_kernelPKfS0_S0_PfS1_S1_iiiii
    .private_segment_fixed_size: 0
    .sgpr_count:     36
    .sgpr_spill_count: 0
    .symbol:         _Z24groupnorm_forward_kernelPKfS0_S0_PfS1_S1_iiiii.kd
    .uniform_work_group_size: 1
    .uses_dynamic_stack: false
    .vgpr_count:     14
    .vgpr_spill_count: 0
    .wavefront_size: 64
  - .agpr_count:     0
    .args:
      - .actual_access:  read_only
        .address_space:  global
        .offset:         0
        .size:           8
        .value_kind:     global_buffer
      - .actual_access:  read_only
        .address_space:  global
        .offset:         8
        .size:           8
        .value_kind:     global_buffer
      - .actual_access:  read_only
        .address_space:  global
        .offset:         16
        .size:           8
        .value_kind:     global_buffer
      - .actual_access:  write_only
        .address_space:  global
        .offset:         24
        .size:           8
        .value_kind:     global_buffer
      - .actual_access:  write_only
        .address_space:  global
        .offset:         32
        .size:           8
        .value_kind:     global_buffer
      - .actual_access:  write_only
        .address_space:  global
        .offset:         40
        .size:           8
        .value_kind:     global_buffer
      - .offset:         48
        .size:           4
        .value_kind:     by_value
      - .offset:         52
        .size:           4
        .value_kind:     by_value
      - .offset:         56
        .size:           4
        .value_kind:     by_value
      - .offset:         60
        .size:           4
        .value_kind:     by_value
      - .offset:         64
        .size:           4
        .value_kind:     by_value
      - .offset:         72
        .size:           4
        .value_kind:     hidden_block_count_x
      - .offset:         76
        .size:           4
        .value_kind:     hidden_block_count_y
      - .offset:         80
        .size:           4
        .value_kind:     hidden_block_count_z
      - .offset:         84
        .size:           2
        .value_kind:     hidden_group_size_x
      - .offset:         86
        .size:           2
        .value_kind:     hidden_group_size_y
      - .offset:         88
        .size:           2
        .value_kind:     hidden_group_size_z
      - .offset:         90
        .size:           2
        .value_kind:     hidden_remainder_x
      - .offset:         92
        .size:           2
        .value_kind:     hidden_remainder_y
      - .offset:         94
        .size:           2
        .value_kind:     hidden_remainder_z
      - .offset:         112
        .size:           8
        .value_kind:     hidden_global_offset_x
      - .offset:         120
        .size:           8
        .value_kind:     hidden_global_offset_y
      - .offset:         128
        .size:           8
        .value_kind:     hidden_global_offset_z
      - .offset:         136
        .size:           2
        .value_kind:     hidden_grid_dims
    .group_segment_fixed_size: 128
    .kernarg_segment_align: 8
    .kernarg_segment_size: 328
    .language:       OpenCL C
    .language_version:
      - 2
      - 0
    .max_flat_workgroup_size: 1024
    .name:           _Z25groupnorm_forward_kernel2PKfS0_S0_PfS1_S1_iiiii
    .private_segment_fixed_size: 0
    .sgpr_count:     35
    .sgpr_spill_count: 0
    .symbol:         _Z25groupnorm_forward_kernel2PKfS0_S0_PfS1_S1_iiiii.kd
    .uniform_work_group_size: 1
    .uses_dynamic_stack: false
    .vgpr_count:     22
    .vgpr_spill_count: 0
    .wavefront_size: 64
  - .agpr_count:     0
    .args:
      - .actual_access:  read_only
        .address_space:  global
        .offset:         0
        .size:           8
        .value_kind:     global_buffer
      - .actual_access:  read_only
        .address_space:  global
        .offset:         8
        .size:           8
        .value_kind:     global_buffer
      - .actual_access:  read_only
        .address_space:  global
        .offset:         16
        .size:           8
        .value_kind:     global_buffer
      - .actual_access:  read_only
        .address_space:  global
        .offset:         24
        .size:           8
        .value_kind:     global_buffer
      - .actual_access:  read_only
        .address_space:  global
        .offset:         32
        .size:           8
        .value_kind:     global_buffer
      - .actual_access:  write_only
        .address_space:  global
        .offset:         40
        .size:           8
        .value_kind:     global_buffer
      - .address_space:  global
        .offset:         48
        .size:           8
        .value_kind:     global_buffer
      - .address_space:  global
        .offset:         56
        .size:           8
        .value_kind:     global_buffer
      - .offset:         64
        .size:           4
        .value_kind:     by_value
      - .offset:         68
        .size:           4
        .value_kind:     by_value
      - .offset:         72
        .size:           4
        .value_kind:     by_value
      - .offset:         76
        .size:           4
        .value_kind:     by_value
      - .offset:         80
        .size:           4
        .value_kind:     by_value
      - .offset:         88
        .size:           4
        .value_kind:     hidden_block_count_x
      - .offset:         92
        .size:           4
        .value_kind:     hidden_block_count_y
      - .offset:         96
        .size:           4
        .value_kind:     hidden_block_count_z
      - .offset:         100
        .size:           2
        .value_kind:     hidden_group_size_x
      - .offset:         102
        .size:           2
        .value_kind:     hidden_group_size_y
      - .offset:         104
        .size:           2
        .value_kind:     hidden_group_size_z
      - .offset:         106
        .size:           2
        .value_kind:     hidden_remainder_x
      - .offset:         108
        .size:           2
        .value_kind:     hidden_remainder_y
      - .offset:         110
        .size:           2
        .value_kind:     hidden_remainder_z
      - .offset:         128
        .size:           8
        .value_kind:     hidden_global_offset_x
      - .offset:         136
        .size:           8
        .value_kind:     hidden_global_offset_y
      - .offset:         144
        .size:           8
        .value_kind:     hidden_global_offset_z
      - .offset:         152
        .size:           2
        .value_kind:     hidden_grid_dims
    .group_segment_fixed_size: 128
    .kernarg_segment_align: 8
    .kernarg_segment_size: 344
    .language:       OpenCL C
    .language_version:
      - 2
      - 0
    .max_flat_workgroup_size: 1024
    .name:           _Z25groupnorm_backward_kernelPKfS0_S0_S0_S0_PfS1_S1_iiiii
    .private_segment_fixed_size: 0
    .sgpr_count:     46
    .sgpr_spill_count: 0
    .symbol:         _Z25groupnorm_backward_kernelPKfS0_S0_S0_S0_PfS1_S1_iiiii.kd
    .uniform_work_group_size: 1
    .uses_dynamic_stack: false
    .vgpr_count:     32
    .vgpr_spill_count: 0
    .wavefront_size: 64
amdhsa.target:   amdgcn-amd-amdhsa--gfx950
amdhsa.version:
  - 1
  - 2
...

	.end_amdgpu_metadata
